;; amdgpu-corpus repo=ROCm/rocFFT kind=compiled arch=gfx906 opt=O3
	.text
	.amdgcn_target "amdgcn-amd-amdhsa--gfx906"
	.amdhsa_code_object_version 6
	.protected	bluestein_single_back_len91_dim1_sp_op_CI_CI ; -- Begin function bluestein_single_back_len91_dim1_sp_op_CI_CI
	.globl	bluestein_single_back_len91_dim1_sp_op_CI_CI
	.p2align	8
	.type	bluestein_single_back_len91_dim1_sp_op_CI_CI,@function
bluestein_single_back_len91_dim1_sp_op_CI_CI: ; @bluestein_single_back_len91_dim1_sp_op_CI_CI
; %bb.0:
	v_mul_u32_u24_e32 v1, 0x13b2, v0
	s_load_dwordx4 s[8:11], s[4:5], 0x28
	v_lshrrev_b32_e32 v1, 16, v1
	v_mad_u64_u32 v[52:53], s[0:1], s6, 19, v[1:2]
	v_mov_b32_e32 v53, 0
	s_waitcnt lgkmcnt(0)
	v_cmp_gt_u64_e32 vcc, s[8:9], v[52:53]
	s_and_saveexec_b64 s[0:1], vcc
	s_cbranch_execz .LBB0_10
; %bb.1:
	s_load_dwordx4 s[0:3], s[4:5], 0x18
	s_load_dwordx4 s[12:15], s[4:5], 0x0
	v_mul_lo_u16_e32 v1, 13, v1
	v_sub_u16_e32 v68, v0, v1
	v_lshlrev_b32_e32 v70, 3, v68
	s_waitcnt lgkmcnt(0)
	s_load_dwordx4 s[16:19], s[0:1], 0x0
	global_load_dwordx2 v[61:62], v70, s[12:13]
	v_mov_b32_e32 v16, s13
                                        ; implicit-def: $vgpr40
                                        ; implicit-def: $vgpr44
                                        ; implicit-def: $vgpr65
	s_waitcnt lgkmcnt(0)
	v_mad_u64_u32 v[0:1], s[0:1], s18, v52, 0
	v_mad_u64_u32 v[2:3], s[0:1], s16, v68, 0
	;; [unrolled: 1-line block ×4, first 2 shown]
	v_mov_b32_e32 v1, v4
	v_lshlrev_b64 v[0:1], 3, v[0:1]
	v_mov_b32_e32 v6, s11
	v_mov_b32_e32 v3, v5
	v_add_co_u32_e32 v4, vcc, s10, v0
	v_addc_co_u32_e32 v5, vcc, v6, v1, vcc
	v_lshlrev_b64 v[0:1], 3, v[2:3]
	s_mul_i32 s0, s17, 0x68
	v_add_co_u32_e32 v0, vcc, v4, v0
	s_mul_hi_u32 s1, s16, 0x68
	v_addc_co_u32_e32 v1, vcc, v5, v1, vcc
	s_add_i32 s0, s1, s0
	s_mul_i32 s1, s16, 0x68
	global_load_dwordx2 v[2:3], v[0:1], off
	v_mov_b32_e32 v4, s0
	v_add_co_u32_e32 v0, vcc, s1, v0
	v_addc_co_u32_e32 v1, vcc, v1, v4, vcc
	v_mov_b32_e32 v5, s0
	v_add_co_u32_e32 v4, vcc, s1, v0
	v_addc_co_u32_e32 v5, vcc, v1, v5, vcc
	global_load_dwordx2 v[6:7], v[0:1], off
	global_load_dwordx2 v[8:9], v[4:5], off
	v_mov_b32_e32 v1, s0
	v_add_co_u32_e32 v0, vcc, s1, v4
	v_addc_co_u32_e32 v1, vcc, v5, v1, vcc
	v_mov_b32_e32 v5, s0
	v_add_co_u32_e32 v4, vcc, s1, v0
	global_load_dwordx2 v[63:64], v70, s[12:13] offset:104
	global_load_dwordx2 v[59:60], v70, s[12:13] offset:208
	;; [unrolled: 1-line block ×3, first 2 shown]
	v_addc_co_u32_e32 v5, vcc, v1, v5, vcc
	global_load_dwordx2 v[10:11], v[0:1], off
	global_load_dwordx2 v[12:13], v[4:5], off
	global_load_dwordx2 v[55:56], v70, s[12:13] offset:416
	v_mov_b32_e32 v1, s0
	v_add_co_u32_e32 v0, vcc, s1, v4
	v_addc_co_u32_e32 v1, vcc, v5, v1, vcc
	global_load_dwordx2 v[4:5], v[0:1], off
	global_load_dwordx2 v[53:54], v70, s[12:13] offset:520
	v_mov_b32_e32 v14, s0
	v_add_co_u32_e32 v0, vcc, s1, v0
	v_addc_co_u32_e32 v1, vcc, v1, v14, vcc
	global_load_dwordx2 v[50:51], v70, s[12:13] offset:624
	global_load_dwordx2 v[14:15], v[0:1], off
	s_mov_b32 s0, 0xaf286bcb
	v_mul_hi_u32 v0, v52, s0
	s_load_dwordx2 s[6:7], s[4:5], 0x38
	s_load_dwordx4 s[8:11], s[2:3], 0x0
	v_add_co_u32_e32 v48, vcc, s12, v70
	v_sub_u32_e32 v1, v52, v0
	v_lshrrev_b32_e32 v1, 1, v1
	v_add_u32_e32 v0, v1, v0
	v_lshrrev_b32_e32 v0, 4, v0
	v_mul_lo_u32 v0, v0, 19
	v_addc_co_u32_e32 v49, vcc, 0, v16, vcc
	s_mov_b32 s1, 0x3f3bfb3b
	v_sub_u32_e32 v0, v52, v0
	v_mul_u32_u24_e32 v0, 0x5b, v0
	v_lshlrev_b32_e32 v69, 3, v0
	v_add_u32_e32 v67, v70, v69
	s_mov_b32 s0, 0x3f5ff5aa
	v_cmp_gt_u16_e32 vcc, 7, v68
	s_waitcnt vmcnt(12)
	v_mul_f32_e32 v0, v3, v62
	v_mul_f32_e32 v1, v2, v62
	v_fmac_f32_e32 v0, v2, v61
	v_fma_f32 v1, v3, v61, -v1
	s_waitcnt vmcnt(9)
	v_mul_f32_e32 v2, v7, v64
	v_mul_f32_e32 v3, v6, v64
	v_fmac_f32_e32 v2, v6, v63
	v_fma_f32 v3, v7, v63, -v3
	s_waitcnt vmcnt(8)
	v_mul_f32_e32 v6, v9, v60
	v_mul_f32_e32 v7, v8, v60
	ds_write2_b64 v67, v[0:1], v[2:3] offset1:13
	s_waitcnt vmcnt(6)
	v_mul_f32_e32 v0, v11, v58
	v_mul_f32_e32 v1, v10, v58
	v_fmac_f32_e32 v6, v8, v59
	v_fma_f32 v7, v9, v59, -v7
	v_fmac_f32_e32 v0, v10, v57
	v_fma_f32 v1, v11, v57, -v1
	ds_write2_b64 v67, v[6:7], v[0:1] offset0:26 offset1:39
	s_waitcnt vmcnt(4)
	v_mul_f32_e32 v0, v12, v56
	v_mul_f32_e32 v2, v13, v56
	v_fma_f32 v3, v13, v55, -v0
	s_waitcnt vmcnt(2)
	v_mul_f32_e32 v0, v5, v54
	v_mul_f32_e32 v1, v4, v54
	v_fmac_f32_e32 v2, v12, v55
	v_fmac_f32_e32 v0, v4, v53
	v_fma_f32 v1, v5, v53, -v1
	ds_write2_b64 v67, v[2:3], v[0:1] offset0:52 offset1:65
	s_waitcnt vmcnt(0)
	v_mul_f32_e32 v0, v15, v51
	v_mul_f32_e32 v1, v14, v51
	v_fmac_f32_e32 v0, v14, v50
	v_fma_f32 v1, v15, v50, -v1
	ds_write_b64 v67, v[0:1] offset:624
	s_waitcnt lgkmcnt(0)
	s_barrier
	ds_read2_b64 v[0:3], v67 offset1:13
	ds_read_b64 v[12:13], v67 offset:624
	ds_read2_b64 v[4:7], v67 offset0:26 offset1:39
	ds_read2_b64 v[8:11], v67 offset0:52 offset1:65
	s_waitcnt lgkmcnt(0)
	s_barrier
	v_add_f32_e32 v14, v2, v12
	v_sub_f32_e32 v2, v2, v12
	v_add_f32_e32 v12, v4, v10
	v_add_f32_e32 v15, v3, v13
	v_sub_f32_e32 v3, v3, v13
	v_add_f32_e32 v13, v5, v11
	v_sub_f32_e32 v4, v4, v10
	;; [unrolled: 2-line block ×5, first 2 shown]
	v_add_f32_e32 v9, v13, v15
	v_add_f32_e32 v8, v10, v8
	v_sub_f32_e32 v16, v12, v14
	v_sub_f32_e32 v14, v14, v10
	;; [unrolled: 1-line block ×3, first 2 shown]
	v_add_f32_e32 v9, v11, v9
	v_add_f32_e32 v24, v0, v8
	v_sub_f32_e32 v17, v13, v15
	v_sub_f32_e32 v12, v10, v12
	;; [unrolled: 1-line block ×3, first 2 shown]
	v_add_f32_e32 v25, v1, v9
	v_mul_f32_e32 v0, 0x3f4a47b2, v14
	v_mul_f32_e32 v14, 0xbf08b237, v20
	v_mov_b32_e32 v20, v24
	v_sub_f32_e32 v15, v15, v11
	v_sub_f32_e32 v21, v7, v5
	v_mul_f32_e32 v10, 0x3d64c772, v12
	v_mul_f32_e32 v11, 0x3d64c772, v13
	v_fmac_f32_e32 v20, 0xbf955555, v8
	v_mov_b32_e32 v8, v25
	v_add_f32_e32 v18, v6, v4
	v_add_f32_e32 v19, v7, v5
	v_sub_f32_e32 v7, v3, v7
	v_sub_f32_e32 v4, v4, v2
	;; [unrolled: 1-line block ×3, first 2 shown]
	v_mul_f32_e32 v1, 0x3f4a47b2, v15
	v_mul_f32_e32 v15, 0xbf08b237, v21
	v_fmac_f32_e32 v8, 0xbf955555, v9
	v_fma_f32 v9, v16, s1, -v10
	v_fma_f32 v10, v17, s1, -v11
	s_mov_b32 s1, 0xbf3bfb3b
	v_sub_f32_e32 v6, v2, v6
	v_add_f32_e32 v2, v18, v2
	v_add_f32_e32 v3, v19, v3
	v_mul_f32_e32 v18, 0x3f5ff5aa, v4
	v_mul_f32_e32 v19, 0x3f5ff5aa, v5
	v_fma_f32 v11, v16, s1, -v0
	v_fmac_f32_e32 v0, 0x3d64c772, v12
	v_fma_f32 v4, v4, s0, -v14
	v_fma_f32 v5, v5, s0, -v15
	v_fmac_f32_e32 v15, 0x3eae86e6, v7
	s_mov_b32 s0, 0xbeae86e6
	v_fma_f32 v12, v17, s1, -v1
	v_fmac_f32_e32 v1, 0x3d64c772, v13
	v_fmac_f32_e32 v14, 0x3eae86e6, v6
	v_fma_f32 v6, v6, s0, -v18
	v_fma_f32 v7, v7, s0, -v19
	v_add_f32_e32 v0, v0, v20
	v_fmac_f32_e32 v15, 0x3ee1c552, v3
	v_add_f32_e32 v1, v1, v8
	v_add_f32_e32 v9, v9, v20
	;; [unrolled: 1-line block ×5, first 2 shown]
	v_fmac_f32_e32 v14, 0x3ee1c552, v2
	v_fmac_f32_e32 v4, 0x3ee1c552, v2
	v_fmac_f32_e32 v5, 0x3ee1c552, v3
	v_fmac_f32_e32 v6, 0x3ee1c552, v2
	v_fmac_f32_e32 v7, 0x3ee1c552, v3
	v_add_f32_e32 v26, v0, v15
	v_sub_f32_e32 v36, v0, v15
	v_mul_lo_u16_e32 v0, 7, v68
	v_sub_f32_e32 v27, v1, v14
	v_add_f32_e32 v28, v7, v11
	v_sub_f32_e32 v29, v8, v6
	v_sub_f32_e32 v30, v9, v5
	v_add_f32_e32 v31, v4, v10
	v_add_f32_e32 v32, v5, v9
	v_sub_f32_e32 v33, v10, v4
	v_sub_f32_e32 v34, v11, v7
	v_add_f32_e32 v35, v6, v8
	v_add_f32_e32 v37, v14, v1
	v_lshl_add_u32 v71, v0, 3, v69
	ds_write2_b64 v71, v[24:25], v[26:27] offset1:1
	ds_write2_b64 v71, v[28:29], v[30:31] offset0:2 offset1:3
	ds_write2_b64 v71, v[32:33], v[34:35] offset0:4 offset1:5
	ds_write_b64 v71, v[36:37] offset:48
	s_waitcnt lgkmcnt(0)
	s_barrier
	s_and_saveexec_b64 s[0:1], vcc
	s_cbranch_execz .LBB0_3
; %bb.2:
	ds_read2_b64 v[24:27], v67 offset1:7
	ds_read2_b64 v[28:31], v67 offset0:14 offset1:21
	ds_read2_b64 v[32:35], v67 offset0:28 offset1:35
	;; [unrolled: 1-line block ×5, first 2 shown]
	ds_read_b64 v[65:66], v67 offset:672
.LBB0_3:
	s_or_b64 exec, exec, s[0:1]
	v_add_u32_e32 v0, -7, v68
	v_cndmask_b32_e32 v0, v0, v68, vcc
	v_mul_hi_i32_i24_e32 v1, 12, v0
	v_mul_i32_i24_e32 v0, 12, v0
	v_lshlrev_b64 v[0:1], 3, v[0:1]
	v_mov_b32_e32 v2, s15
	v_add_co_u32_e64 v72, s[0:1], s14, v0
	v_addc_co_u32_e64 v73, s[0:1], v2, v1, s[0:1]
	global_load_dwordx4 v[12:15], v[72:73], off
	global_load_dwordx4 v[8:11], v[72:73], off offset:16
	global_load_dwordx4 v[4:7], v[72:73], off offset:32
	;; [unrolled: 1-line block ×5, first 2 shown]
	s_mov_b32 s1, 0x3f62ad3f
	s_mov_b32 s0, 0x3f116cb1
	;; [unrolled: 1-line block ×6, first 2 shown]
	s_waitcnt vmcnt(5) lgkmcnt(6)
	v_mul_f32_e32 v87, v27, v13
	v_mul_f32_e32 v72, v26, v13
	s_waitcnt lgkmcnt(5)
	v_mul_f32_e32 v82, v29, v15
	v_mul_f32_e32 v73, v28, v15
	s_waitcnt vmcnt(1) lgkmcnt(2)
	v_mul_f32_e32 v80, v42, v17
	s_waitcnt vmcnt(0) lgkmcnt(0)
	v_mul_f32_e32 v95, v66, v23
	v_mul_f32_e32 v85, v65, v23
	;; [unrolled: 1-line block ×9, first 2 shown]
	v_fmac_f32_e32 v80, v43, v16
	v_fma_f32 v87, v26, v12, -v87
	v_fmac_f32_e32 v72, v27, v12
	v_fma_f32 v43, v65, v22, -v95
	v_fmac_f32_e32 v85, v66, v22
	v_mul_f32_e32 v84, v31, v9
	v_mul_f32_e32 v74, v30, v9
	;; [unrolled: 1-line block ×8, first 2 shown]
	v_fma_f32 v82, v28, v14, -v82
	v_fmac_f32_e32 v73, v29, v14
	v_fmac_f32_e32 v76, v35, v4
	v_fma_f32 v35, v36, v6, -v89
	v_fmac_f32_e32 v78, v39, v0
	v_fma_f32 v39, v40, v2, -v91
	v_fma_f32 v40, v42, v16, -v92
	;; [unrolled: 1-line block ×3, first 2 shown]
	v_fmac_f32_e32 v83, v47, v20
	v_sub_f32_e32 v36, v87, v43
	v_sub_f32_e32 v156, v72, v85
	v_mul_f32_e32 v75, v32, v11
	v_fma_f32 v84, v30, v8, -v84
	v_fmac_f32_e32 v74, v31, v8
	v_fma_f32 v34, v34, v4, -v88
	v_fmac_f32_e32 v77, v37, v6
	v_fmac_f32_e32 v79, v41, v2
	v_fma_f32 v41, v44, v18, -v93
	v_fmac_f32_e32 v81, v45, v18
	v_add_f32_e32 v100, v72, v85
	v_sub_f32_e32 v37, v82, v42
	v_sub_f32_e32 v157, v73, v83
	v_mul_f32_e32 v88, 0xbeedf032, v36
	v_mul_f32_e32 v46, 0xbeedf032, v156
	v_fmac_f32_e32 v75, v33, v10
	v_add_f32_e32 v98, v73, v83
	v_add_f32_e32 v101, v87, v43
	v_sub_f32_e32 v158, v74, v81
	v_mul_f32_e32 v47, 0xbf52af12, v37
	v_mul_f32_e32 v45, 0xbf52af12, v157
	v_fma_f32 v26, v100, s1, -v88
	v_mov_b32_e32 v28, v46
	v_sub_f32_e32 v159, v84, v41
	v_mul_f32_e32 v86, v33, v11
	v_add_f32_e32 v99, v82, v42
	v_add_f32_e32 v96, v74, v81
	v_mul_f32_e32 v44, 0xbf7e222b, v158
	v_fma_f32 v27, v98, s0, -v47
	v_mov_b32_e32 v29, v45
	v_add_f32_e32 v26, v25, v26
	v_fmac_f32_e32 v28, 0x3f62ad3f, v101
	v_mul_f32_e32 v89, 0xbf7e222b, v159
	v_sub_f32_e32 v161, v75, v80
	v_fma_f32 v86, v32, v10, -v86
	v_fma_f32 v38, v38, v0, -v90
	v_add_f32_e32 v95, v84, v41
	v_mov_b32_e32 v30, v44
	v_fmac_f32_e32 v29, 0x3f116cb1, v99
	v_add_f32_e32 v26, v27, v26
	v_add_f32_e32 v27, v24, v28
	v_fma_f32 v28, v96, s2, -v89
	v_mul_f32_e32 v90, 0xbf6f5d39, v161
	v_fmac_f32_e32 v30, 0x3df6dbef, v95
	v_add_f32_e32 v27, v29, v27
	v_add_f32_e32 v26, v28, v26
	;; [unrolled: 1-line block ×3, first 2 shown]
	v_mov_b32_e32 v28, v90
	v_sub_f32_e32 v163, v86, v40
	v_add_f32_e32 v27, v30, v27
	v_fmac_f32_e32 v28, 0xbeb58ec6, v106
	v_add_f32_e32 v112, v75, v80
	v_mul_f32_e32 v91, 0xbf6f5d39, v163
	v_sub_f32_e32 v166, v76, v79
	v_add_f32_e32 v27, v28, v27
	v_fma_f32 v28, v112, s3, -v91
	v_mul_f32_e32 v92, 0xbf29c268, v166
	v_add_f32_e32 v26, v28, v26
	v_add_f32_e32 v116, v34, v39
	v_mov_b32_e32 v28, v92
	v_sub_f32_e32 v167, v34, v39
	v_fmac_f32_e32 v28, 0xbf3f9e67, v116
	v_add_f32_e32 v117, v76, v79
	v_mul_f32_e32 v93, 0xbf29c268, v167
	v_sub_f32_e32 v168, v77, v78
	v_add_f32_e32 v27, v28, v27
	v_fma_f32 v28, v117, s4, -v93
	v_mul_f32_e32 v94, 0xbe750f2a, v168
	v_add_f32_e32 v26, v28, v26
	v_add_f32_e32 v124, v35, v38
	v_mov_b32_e32 v28, v94
	v_sub_f32_e32 v169, v35, v38
	v_fmac_f32_e32 v28, 0xbf788fa5, v124
	v_add_f32_e32 v125, v77, v78
	v_mul_f32_e32 v97, 0xbe750f2a, v169
	v_add_f32_e32 v65, v28, v27
	v_fma_f32 v27, v125, s5, -v97
	v_mul_f32_e32 v102, 0xbf52af12, v156
	v_add_f32_e32 v66, v27, v26
	v_mov_b32_e32 v26, v102
	v_mul_f32_e32 v103, 0xbf6f5d39, v157
	v_fmac_f32_e32 v26, 0x3f116cb1, v101
	v_mov_b32_e32 v27, v103
	v_add_f32_e32 v26, v24, v26
	v_fmac_f32_e32 v27, 0xbeb58ec6, v99
	v_mul_f32_e32 v107, 0xbf52af12, v36
	v_add_f32_e32 v26, v27, v26
	v_fma_f32 v27, v100, s0, -v107
	v_mul_f32_e32 v109, 0xbf6f5d39, v37
	v_add_f32_e32 v27, v25, v27
	v_fma_f32 v28, v98, s3, -v109
	v_mul_f32_e32 v104, 0xbe750f2a, v158
	v_add_f32_e32 v27, v28, v27
	v_mov_b32_e32 v28, v104
	v_fmac_f32_e32 v28, 0xbf788fa5, v95
	v_mul_f32_e32 v111, 0xbe750f2a, v159
	v_add_f32_e32 v26, v28, v26
	v_fma_f32 v28, v96, s5, -v111
	v_mul_f32_e32 v105, 0x3f29c268, v161
	v_add_f32_e32 v27, v28, v27
	v_mov_b32_e32 v28, v105
	v_fmac_f32_e32 v28, 0xbf3f9e67, v106
	;; [unrolled: 7-line block ×4, first 2 shown]
	v_mul_f32_e32 v115, 0x3eedf032, v169
	v_mul_f32_e32 v118, 0xbf7e222b, v156
	v_fma_f32 v29, v125, s1, -v115
	v_add_f32_e32 v28, v28, v26
	v_mov_b32_e32 v26, v118
	v_mul_f32_e32 v119, 0xbe750f2a, v157
	v_add_f32_e32 v29, v29, v27
	v_fmac_f32_e32 v26, 0x3df6dbef, v101
	v_mov_b32_e32 v27, v119
	v_add_f32_e32 v26, v24, v26
	v_fmac_f32_e32 v27, 0xbf788fa5, v99
	v_mul_f32_e32 v120, 0x3f6f5d39, v158
	v_add_f32_e32 v26, v27, v26
	v_mov_b32_e32 v27, v120
	v_fmac_f32_e32 v27, 0xbeb58ec6, v95
	v_mul_f32_e32 v121, 0x3eedf032, v161
	v_add_f32_e32 v26, v27, v26
	v_mov_b32_e32 v27, v121
	;; [unrolled: 4-line block ×4, first 2 shown]
	v_fmac_f32_e32 v27, 0xbf3f9e67, v124
	v_mul_f32_e32 v126, 0xbf7e222b, v36
	v_add_f32_e32 v26, v27, v26
	v_fma_f32 v27, v100, s2, -v126
	v_mul_f32_e32 v127, 0xbe750f2a, v37
	v_add_f32_e32 v27, v25, v27
	v_fma_f32 v30, v98, s5, -v127
	;; [unrolled: 3-line block ×6, first 2 shown]
	v_mul_f32_e32 v132, 0xbf6f5d39, v156
	v_add_f32_e32 v27, v30, v27
	v_mov_b32_e32 v30, v132
	v_mul_f32_e32 v133, 0x3f29c268, v157
	v_fmac_f32_e32 v30, 0xbeb58ec6, v101
	v_mov_b32_e32 v31, v133
	v_add_f32_e32 v30, v24, v30
	v_fmac_f32_e32 v31, 0xbf3f9e67, v99
	v_mul_f32_e32 v136, 0xbf6f5d39, v36
	v_add_f32_e32 v30, v31, v30
	v_fma_f32 v31, v100, s3, -v136
	v_mul_f32_e32 v138, 0x3f29c268, v37
	v_add_f32_e32 v31, v25, v31
	v_fma_f32 v32, v98, s4, -v138
	v_mul_f32_e32 v134, 0x3eedf032, v158
	v_add_f32_e32 v31, v32, v31
	v_mov_b32_e32 v32, v134
	v_fmac_f32_e32 v32, 0x3f62ad3f, v95
	v_mul_f32_e32 v140, 0x3eedf032, v159
	v_add_f32_e32 v30, v32, v30
	v_fma_f32 v32, v96, s1, -v140
	v_mul_f32_e32 v135, 0xbf7e222b, v161
	v_add_f32_e32 v31, v32, v31
	v_mov_b32_e32 v32, v135
	v_fmac_f32_e32 v32, 0x3df6dbef, v106
	;; [unrolled: 7-line block ×4, first 2 shown]
	v_mul_f32_e32 v143, 0x3f52af12, v169
	v_mul_f32_e32 v144, 0xbf29c268, v156
	v_fma_f32 v33, v125, s0, -v143
	v_add_f32_e32 v32, v32, v30
	v_mov_b32_e32 v30, v144
	v_mul_f32_e32 v145, 0x3f7e222b, v157
	v_add_f32_e32 v33, v33, v31
	v_fmac_f32_e32 v30, 0xbf3f9e67, v101
	v_mov_b32_e32 v31, v145
	v_add_f32_e32 v30, v24, v30
	v_fmac_f32_e32 v31, 0x3df6dbef, v99
	v_mul_f32_e32 v146, 0xbf52af12, v158
	v_add_f32_e32 v30, v31, v30
	v_mov_b32_e32 v31, v146
	v_fmac_f32_e32 v31, 0x3f116cb1, v95
	v_mul_f32_e32 v147, 0x3e750f2a, v161
	v_add_f32_e32 v30, v31, v30
	v_mov_b32_e32 v31, v147
	;; [unrolled: 4-line block ×4, first 2 shown]
	v_fmac_f32_e32 v31, 0xbeb58ec6, v124
	v_mul_f32_e32 v150, 0xbf29c268, v36
	v_add_f32_e32 v30, v31, v30
	v_fma_f32 v31, v100, s4, -v150
	v_mul_f32_e32 v151, 0x3f7e222b, v37
	v_add_f32_e32 v31, v25, v31
	v_fma_f32 v152, v98, s2, -v151
	v_add_f32_e32 v31, v152, v31
	v_mul_f32_e32 v152, 0xbf52af12, v159
	v_fma_f32 v153, v96, s0, -v152
	v_add_f32_e32 v31, v153, v31
	v_mul_f32_e32 v153, 0x3e750f2a, v163
	;; [unrolled: 3-line block ×4, first 2 shown]
	v_fma_f32 v160, v125, s3, -v155
	v_mul_f32_e32 v156, 0xbe750f2a, v156
	v_add_f32_e32 v31, v160, v31
	v_mov_b32_e32 v160, v156
	v_mul_f32_e32 v157, 0x3eedf032, v157
	v_fmac_f32_e32 v160, 0xbf788fa5, v101
	v_mov_b32_e32 v162, v157
	v_add_f32_e32 v160, v24, v160
	v_fmac_f32_e32 v162, 0x3f62ad3f, v99
	v_add_f32_e32 v164, v162, v160
	v_mul_f32_e32 v160, 0xbe750f2a, v36
	v_fma_f32 v36, v100, s5, -v160
	v_mul_f32_e32 v162, 0x3eedf032, v37
	v_add_f32_e32 v36, v25, v36
	v_fma_f32 v37, v98, s1, -v162
	v_mul_f32_e32 v158, 0xbf29c268, v158
	v_add_f32_e32 v36, v37, v36
	v_mov_b32_e32 v37, v158
	v_fmac_f32_e32 v37, 0xbf3f9e67, v95
	v_add_f32_e32 v37, v37, v164
	v_mul_f32_e32 v164, 0xbf29c268, v159
	v_fma_f32 v159, v96, s4, -v164
	v_add_f32_e32 v36, v159, v36
	v_mul_f32_e32 v159, 0x3f52af12, v161
	v_mov_b32_e32 v161, v159
	v_fmac_f32_e32 v161, 0x3f116cb1, v106
	v_mul_f32_e32 v165, 0x3f52af12, v163
	v_add_f32_e32 v37, v161, v37
	v_fma_f32 v161, v112, s0, -v165
	v_add_f32_e32 v36, v161, v36
	v_mul_f32_e32 v161, 0xbf6f5d39, v166
	v_mov_b32_e32 v163, v161
	v_fmac_f32_e32 v163, 0xbeb58ec6, v116
	v_mul_f32_e32 v166, 0xbf6f5d39, v167
	v_add_f32_e32 v37, v163, v37
	v_fma_f32 v163, v117, s3, -v166
	v_add_f32_e32 v170, v163, v36
	v_mul_f32_e32 v163, 0x3f7e222b, v168
	v_mul_f32_e32 v167, 0x3f7e222b, v169
	v_mov_b32_e32 v36, v163
	v_fmac_f32_e32 v36, 0x3df6dbef, v124
	v_fma_f32 v168, v125, s2, -v167
	v_add_f32_e32 v36, v36, v37
	v_add_f32_e32 v37, v168, v170
	s_and_saveexec_b64 s[0:1], vcc
	s_cbranch_execz .LBB0_5
; %bb.4:
	v_mul_f32_e32 v169, 0x3f62ad3f, v100
	v_mul_f32_e32 v171, 0x3f116cb1, v100
	;; [unrolled: 1-line block ×12, first 2 shown]
	v_add_f32_e32 v100, v160, v100
	v_mul_f32_e32 v189, 0x3df6dbef, v96
	v_mul_f32_e32 v191, 0xbf788fa5, v96
	v_mul_f32_e32 v193, 0xbeb58ec6, v96
	v_mul_f32_e32 v195, 0x3f62ad3f, v96
	v_mul_f32_e32 v197, 0x3f116cb1, v96
	v_mul_f32_e32 v96, 0xbf3f9e67, v96
	v_add_f32_e32 v100, v25, v100
	v_add_f32_e32 v98, v162, v98
	v_mul_f32_e32 v199, 0xbeb58ec6, v112
	v_mul_f32_e32 v201, 0xbf3f9e67, v112
	v_mul_f32_e32 v203, 0x3f62ad3f, v112
	v_mul_f32_e32 v205, 0x3df6dbef, v112
	v_mul_f32_e32 v207, 0xbf788fa5, v112
	v_mul_f32_e32 v112, 0x3f116cb1, v112
	v_add_f32_e32 v98, v98, v100
	v_add_f32_e32 v96, v164, v96
	v_mul_f32_e32 v209, 0xbf3f9e67, v117
	v_mul_f32_e32 v211, 0x3df6dbef, v117
	v_mul_f32_e32 v213, 0x3f116cb1, v117
	v_mul_f32_e32 v215, 0xbf788fa5, v117
	v_mul_f32_e32 v217, 0x3f62ad3f, v117
	v_mul_f32_e32 v117, 0xbeb58ec6, v117
	v_add_f32_e32 v96, v96, v98
	v_add_f32_e32 v98, v165, v112
	v_mul_f32_e32 v219, 0xbf788fa5, v125
	v_mul_f32_e32 v221, 0x3f62ad3f, v125
	v_mul_f32_e32 v223, 0xbf3f9e67, v125
	v_mul_f32_e32 v225, 0x3f116cb1, v125
	v_mul_f32_e32 v227, 0xbeb58ec6, v125
	v_mul_f32_e32 v125, 0x3df6dbef, v125
	v_add_f32_e32 v96, v98, v96
	v_add_f32_e32 v98, v166, v117
	v_mul_f32_e32 v168, 0x3f62ad3f, v101
	v_mul_f32_e32 v170, 0x3f116cb1, v101
	v_mul_f32_e32 v172, 0x3df6dbef, v101
	v_mul_f32_e32 v174, 0xbeb58ec6, v101
	v_mul_f32_e32 v176, 0xbf3f9e67, v101
	v_mul_f32_e32 v101, 0xbf788fa5, v101
	v_add_f32_e32 v96, v98, v96
	v_add_f32_e32 v98, v167, v125
	v_mul_f32_e32 v178, 0x3f116cb1, v99
	v_mul_f32_e32 v180, 0xbeb58ec6, v99
	v_mul_f32_e32 v182, 0xbf788fa5, v99
	v_mul_f32_e32 v184, 0xbf3f9e67, v99
	v_mul_f32_e32 v186, 0x3df6dbef, v99
	v_mul_f32_e32 v99, 0x3f62ad3f, v99
	v_add_f32_e32 v96, v98, v96
	v_sub_f32_e32 v98, v101, v156
	v_mul_f32_e32 v188, 0x3df6dbef, v95
	v_mul_f32_e32 v190, 0xbf788fa5, v95
	v_mul_f32_e32 v192, 0xbeb58ec6, v95
	v_mul_f32_e32 v194, 0x3f62ad3f, v95
	v_mul_f32_e32 v196, 0x3f116cb1, v95
	v_mul_f32_e32 v95, 0xbf3f9e67, v95
	v_add_f32_e32 v98, v24, v98
	v_sub_f32_e32 v99, v99, v157
	v_mul_f32_e32 v198, 0xbeb58ec6, v106
	v_mul_f32_e32 v200, 0xbf3f9e67, v106
	v_mul_f32_e32 v202, 0x3f62ad3f, v106
	v_mul_f32_e32 v204, 0x3df6dbef, v106
	v_mul_f32_e32 v206, 0xbf788fa5, v106
	v_mul_f32_e32 v106, 0x3f116cb1, v106
	v_add_f32_e32 v98, v99, v98
	;; [unrolled: 8-line block ×4, first 2 shown]
	v_sub_f32_e32 v98, v116, v161
	v_add_f32_e32 v95, v98, v95
	v_sub_f32_e32 v98, v124, v163
	v_add_f32_e32 v95, v98, v95
	v_add_f32_e32 v98, v150, v177
	v_add_f32_e32 v98, v25, v98
	v_add_f32_e32 v99, v151, v187
	v_add_f32_e32 v98, v99, v98
	v_add_f32_e32 v99, v152, v197
	v_add_f32_e32 v98, v99, v98
	v_add_f32_e32 v99, v153, v207
	v_add_f32_e32 v98, v99, v98
	v_add_f32_e32 v99, v154, v217
	v_add_f32_e32 v98, v99, v98
	v_add_f32_e32 v99, v155, v227
	v_add_f32_e32 v99, v99, v98
	v_sub_f32_e32 v98, v176, v144
	v_add_f32_e32 v98, v24, v98
	v_sub_f32_e32 v100, v186, v145
	v_add_f32_e32 v98, v100, v98
	v_sub_f32_e32 v100, v196, v146
	v_add_f32_e32 v98, v100, v98
	v_sub_f32_e32 v100, v206, v147
	v_add_f32_e32 v98, v100, v98
	v_sub_f32_e32 v100, v216, v148
	v_add_f32_e32 v98, v100, v98
	v_sub_f32_e32 v100, v226, v149
	v_add_f32_e32 v98, v100, v98
	v_add_f32_e32 v100, v136, v175
	v_add_f32_e32 v100, v25, v100
	v_add_f32_e32 v101, v138, v185
	v_add_f32_e32 v100, v101, v100
	v_add_f32_e32 v101, v140, v195
	v_add_f32_e32 v100, v101, v100
	v_add_f32_e32 v101, v141, v205
	v_add_f32_e32 v100, v101, v100
	v_add_f32_e32 v101, v142, v215
	v_add_f32_e32 v100, v101, v100
	v_add_f32_e32 v101, v143, v225
	v_add_f32_e32 v101, v101, v100
	v_sub_f32_e32 v100, v174, v132
	v_add_f32_e32 v100, v24, v100
	v_sub_f32_e32 v106, v184, v133
	v_add_f32_e32 v100, v106, v100
	v_sub_f32_e32 v106, v194, v134
	v_add_f32_e32 v100, v106, v100
	v_sub_f32_e32 v106, v204, v135
	v_add_f32_e32 v100, v106, v100
	;; [unrolled: 24-line block ×3, first 2 shown]
	v_sub_f32_e32 v112, v212, v122
	v_add_f32_e32 v106, v112, v106
	v_sub_f32_e32 v112, v222, v123
	v_add_f32_e32 v116, v112, v106
	v_add_f32_e32 v106, v107, v171
	v_sub_f32_e32 v102, v170, v102
	v_add_f32_e32 v88, v88, v169
	v_sub_f32_e32 v46, v168, v46
	v_add_f32_e32 v106, v25, v106
	v_add_f32_e32 v102, v24, v102
	;; [unrolled: 1-line block ×19, first 2 shown]
	v_sub_f32_e32 v103, v180, v103
	v_add_f32_e32 v47, v47, v179
	v_sub_f32_e32 v45, v178, v45
	v_add_f32_e32 v25, v25, v79
	v_add_f32_e32 v24, v24, v39
	v_add_f32_e32 v106, v107, v106
	v_add_f32_e32 v107, v111, v191
	v_add_f32_e32 v102, v103, v102
	v_sub_f32_e32 v103, v190, v104
	v_add_f32_e32 v47, v47, v88
	v_add_f32_e32 v88, v89, v189
	v_add_f32_e32 v45, v45, v46
	v_sub_f32_e32 v44, v188, v44
	v_add_f32_e32 v25, v25, v80
	v_add_f32_e32 v24, v24, v40
	v_add_f32_e32 v106, v107, v106
	v_add_f32_e32 v107, v113, v201
	v_add_f32_e32 v102, v103, v102
	v_sub_f32_e32 v103, v200, v105
	v_add_f32_e32 v47, v88, v47
	v_add_f32_e32 v88, v91, v199
	v_add_f32_e32 v44, v44, v45
	v_sub_f32_e32 v45, v198, v90
	v_add_f32_e32 v25, v25, v81
	v_add_f32_e32 v24, v24, v41
	v_add_f32_e32 v106, v107, v106
	v_add_f32_e32 v107, v114, v211
	v_add_f32_e32 v102, v103, v102
	v_sub_f32_e32 v103, v210, v108
	v_add_f32_e32 v47, v88, v47
	v_add_f32_e32 v88, v93, v209
	v_add_f32_e32 v44, v45, v44
	v_sub_f32_e32 v45, v208, v92
	v_add_f32_e32 v25, v25, v83
	v_add_f32_e32 v24, v24, v42
	v_add_f32_e32 v106, v107, v106
	v_add_f32_e32 v107, v115, v221
	v_add_f32_e32 v102, v103, v102
	v_sub_f32_e32 v103, v220, v110
	v_add_f32_e32 v47, v88, v47
	v_add_f32_e32 v88, v97, v219
	v_add_f32_e32 v44, v45, v44
	v_sub_f32_e32 v45, v218, v94
	v_add_f32_e32 v25, v25, v85
	v_add_f32_e32 v24, v24, v43
	;; [unrolled: 1-line block ×6, first 2 shown]
	ds_write_b64 v67, v[24:25]
	v_lshl_add_u32 v24, v68, 3, v69
	ds_write2_b64 v24, v[46:47], v[105:106] offset0:7 offset1:14
	ds_write2_b64 v24, v[116:117], v[100:101] offset0:21 offset1:28
	;; [unrolled: 1-line block ×6, first 2 shown]
.LBB0_5:
	s_or_b64 exec, exec, s[0:1]
	s_waitcnt lgkmcnt(0)
	s_barrier
	global_load_dwordx2 v[24:25], v[48:49], off offset:728
	s_add_u32 s0, s12, 0x2d8
	s_addc_u32 s1, s13, 0
	global_load_dwordx2 v[34:35], v70, s[0:1] offset:104
	global_load_dwordx2 v[46:47], v70, s[0:1] offset:208
	;; [unrolled: 1-line block ×6, first 2 shown]
	ds_read2_b64 v[38:41], v67 offset1:13
	s_mov_b32 s1, 0x3f3bfb3b
	s_mov_b32 s0, 0xbf5ff5aa
	s_waitcnt vmcnt(6) lgkmcnt(0)
	v_mul_f32_e32 v42, v39, v25
	v_mul_f32_e32 v43, v38, v25
	v_fma_f32 v42, v38, v24, -v42
	v_fmac_f32_e32 v43, v39, v24
	s_waitcnt vmcnt(5)
	v_mul_f32_e32 v24, v41, v35
	v_mul_f32_e32 v25, v40, v35
	v_fma_f32 v24, v40, v34, -v24
	v_fmac_f32_e32 v25, v41, v34
	ds_write2_b64 v67, v[42:43], v[24:25] offset1:13
	ds_read2_b64 v[38:41], v67 offset0:26 offset1:39
	ds_read2_b64 v[42:45], v67 offset0:52 offset1:65
	ds_read_b64 v[24:25], v67 offset:624
	s_waitcnt vmcnt(4) lgkmcnt(2)
	v_mul_f32_e32 v34, v39, v47
	v_mul_f32_e32 v35, v38, v47
	s_waitcnt vmcnt(3)
	v_mul_f32_e32 v70, v41, v49
	v_mul_f32_e32 v47, v40, v49
	s_waitcnt vmcnt(2) lgkmcnt(1)
	v_mul_f32_e32 v78, v43, v73
	v_mul_f32_e32 v49, v42, v73
	s_waitcnt vmcnt(1)
	v_mul_f32_e32 v79, v45, v75
	v_mul_f32_e32 v73, v44, v75
	s_waitcnt vmcnt(0) lgkmcnt(0)
	v_mul_f32_e32 v80, v25, v77
	v_mul_f32_e32 v75, v24, v77
	v_fma_f32 v34, v38, v46, -v34
	v_fmac_f32_e32 v35, v39, v46
	v_fma_f32 v46, v40, v48, -v70
	v_fmac_f32_e32 v47, v41, v48
	;; [unrolled: 2-line block ×5, first 2 shown]
	ds_write2_b64 v67, v[34:35], v[46:47] offset0:26 offset1:39
	ds_write2_b64 v67, v[48:49], v[72:73] offset0:52 offset1:65
	ds_write_b64 v67, v[74:75] offset:624
	s_waitcnt lgkmcnt(0)
	s_barrier
	ds_read2_b64 v[38:41], v67 offset1:13
	ds_read_b64 v[24:25], v67 offset:624
	ds_read2_b64 v[42:45], v67 offset0:26 offset1:39
	ds_read2_b64 v[46:49], v67 offset0:52 offset1:65
	s_waitcnt lgkmcnt(0)
	s_barrier
	v_add_f32_e32 v34, v40, v24
	v_add_f32_e32 v35, v41, v25
	v_sub_f32_e32 v24, v40, v24
	v_sub_f32_e32 v25, v41, v25
	v_add_f32_e32 v40, v42, v48
	v_add_f32_e32 v41, v43, v49
	v_sub_f32_e32 v42, v42, v48
	v_sub_f32_e32 v43, v43, v49
	;; [unrolled: 4-line block ×3, first 2 shown]
	v_add_f32_e32 v46, v40, v34
	v_add_f32_e32 v47, v41, v35
	;; [unrolled: 1-line block ×4, first 2 shown]
	v_sub_f32_e32 v70, v40, v34
	v_sub_f32_e32 v72, v41, v35
	;; [unrolled: 1-line block ×4, first 2 shown]
	v_add_f32_e32 v38, v38, v46
	v_add_f32_e32 v39, v39, v47
	v_sub_f32_e32 v34, v34, v48
	v_sub_f32_e32 v35, v35, v49
	v_add_f32_e32 v73, v44, v42
	v_add_f32_e32 v74, v45, v43
	v_sub_f32_e32 v75, v44, v42
	v_sub_f32_e32 v76, v45, v43
	v_mul_f32_e32 v48, 0x3d64c772, v40
	v_mul_f32_e32 v49, 0x3d64c772, v41
	v_mov_b32_e32 v77, v38
	v_mov_b32_e32 v78, v39
	v_sub_f32_e32 v44, v24, v44
	v_sub_f32_e32 v45, v25, v45
	;; [unrolled: 1-line block ×4, first 2 shown]
	v_add_f32_e32 v24, v73, v24
	v_add_f32_e32 v25, v74, v25
	v_mul_f32_e32 v34, 0x3f4a47b2, v34
	v_mul_f32_e32 v73, 0x3f08b237, v75
	;; [unrolled: 1-line block ×3, first 2 shown]
	v_fmac_f32_e32 v77, 0xbf955555, v46
	v_fmac_f32_e32 v78, 0xbf955555, v47
	v_fma_f32 v46, v70, s1, -v48
	v_fma_f32 v47, v72, s1, -v49
	s_mov_b32 s1, 0xbf3bfb3b
	v_mul_f32_e32 v35, 0x3f4a47b2, v35
	v_mul_f32_e32 v75, 0xbf5ff5aa, v42
	;; [unrolled: 1-line block ×3, first 2 shown]
	v_fma_f32 v48, v70, s1, -v34
	v_fma_f32 v70, v42, s0, -v73
	;; [unrolled: 1-line block ×3, first 2 shown]
	s_mov_b32 s0, 0x3eae86e6
	v_fmac_f32_e32 v34, 0x3d64c772, v40
	v_fma_f32 v40, v72, s1, -v35
	v_fmac_f32_e32 v35, 0x3d64c772, v41
	v_fmac_f32_e32 v73, 0xbeae86e6, v44
	v_fmac_f32_e32 v74, 0xbeae86e6, v45
	v_fma_f32 v72, v44, s0, -v75
	v_fma_f32 v44, v45, s0, -v76
	v_add_f32_e32 v34, v34, v77
	v_add_f32_e32 v35, v35, v78
	;; [unrolled: 1-line block ×6, first 2 shown]
	v_fmac_f32_e32 v73, 0xbee1c552, v24
	v_fmac_f32_e32 v74, 0xbee1c552, v25
	;; [unrolled: 1-line block ×6, first 2 shown]
	v_add_f32_e32 v40, v34, v74
	v_sub_f32_e32 v41, v35, v73
	v_add_f32_e32 v46, v44, v75
	v_sub_f32_e32 v47, v76, v72
	v_sub_f32_e32 v48, v43, v42
	v_add_f32_e32 v49, v70, v45
	v_add_f32_e32 v42, v42, v43
	v_sub_f32_e32 v43, v45, v70
	v_sub_f32_e32 v44, v75, v44
	v_add_f32_e32 v45, v72, v76
	v_sub_f32_e32 v34, v34, v74
	v_add_f32_e32 v35, v73, v35
	ds_write2_b64 v71, v[38:39], v[40:41] offset1:1
	ds_write2_b64 v71, v[46:47], v[48:49] offset0:2 offset1:3
	ds_write2_b64 v71, v[42:43], v[44:45] offset0:4 offset1:5
	ds_write_b64 v71, v[34:35] offset:48
	s_waitcnt lgkmcnt(0)
	s_barrier
	s_and_saveexec_b64 s[0:1], vcc
	s_cbranch_execz .LBB0_7
; %bb.6:
	ds_read2_b64 v[38:41], v67 offset1:7
	ds_read2_b64 v[46:49], v67 offset0:14 offset1:21
	ds_read2_b64 v[42:45], v67 offset0:28 offset1:35
	;; [unrolled: 1-line block ×5, first 2 shown]
	ds_read_b64 v[65:66], v67 offset:672
.LBB0_7:
	s_or_b64 exec, exec, s[0:1]
	s_and_saveexec_b64 s[0:1], vcc
	s_cbranch_execz .LBB0_9
; %bb.8:
	s_waitcnt lgkmcnt(0)
	v_mul_f32_e32 v24, v23, v65
	v_mul_f32_e32 v25, v13, v40
	v_fma_f32 v24, v22, v66, -v24
	v_fma_f32 v25, v12, v41, -v25
	v_add_f32_e32 v70, v24, v25
	v_mul_f32_e32 v41, v13, v41
	v_mul_f32_e32 v23, v23, v66
	;; [unrolled: 1-line block ×3, first 2 shown]
	v_fmac_f32_e32 v41, v12, v40
	v_fmac_f32_e32 v23, v22, v65
	v_sub_f32_e32 v12, v41, v23
	v_mov_b32_e32 v13, v71
	v_fmac_f32_e32 v13, 0x3e750f2a, v12
	v_add_f32_e32 v22, v39, v13
	v_mul_f32_e32 v13, v21, v28
	v_fma_f32 v40, v20, v29, -v13
	v_mul_f32_e32 v13, v15, v46
	v_fma_f32 v65, v14, v47, -v13
	v_mul_f32_e32 v47, v15, v47
	v_add_f32_e32 v66, v40, v65
	v_fmac_f32_e32 v47, v14, v46
	v_mul_f32_e32 v14, v21, v29
	v_mul_f32_e32 v72, 0x3f62ad3f, v66
	v_fmac_f32_e32 v14, v20, v28
	v_sub_f32_e32 v13, v47, v14
	v_mov_b32_e32 v15, v72
	v_mul_f32_e32 v20, v19, v26
	v_mul_f32_e32 v21, v9, v48
	v_fmac_f32_e32 v15, 0xbeedf032, v13
	v_fma_f32 v20, v18, v27, -v20
	v_fma_f32 v21, v8, v49, -v21
	v_add_f32_e32 v15, v15, v22
	v_add_f32_e32 v22, v20, v21
	v_mul_f32_e32 v29, v9, v49
	v_mul_f32_e32 v19, v19, v27
	;; [unrolled: 1-line block ×3, first 2 shown]
	v_fmac_f32_e32 v29, v8, v48
	v_fmac_f32_e32 v19, v18, v26
	v_sub_f32_e32 v26, v29, v19
	v_mov_b32_e32 v8, v28
	v_fmac_f32_e32 v8, 0x3f29c268, v26
	v_mul_f32_e32 v9, v17, v32
	v_add_f32_e32 v8, v8, v15
	v_fma_f32 v15, v16, v33, -v9
	v_mul_f32_e32 v9, v11, v42
	v_fma_f32 v18, v10, v43, -v9
	v_add_f32_e32 v27, v15, v18
	v_mul_f32_e32 v43, v11, v43
	v_mul_f32_e32 v17, v17, v33
	v_mul_f32_e32 v46, 0x3f116cb1, v27
	v_fmac_f32_e32 v43, v10, v42
	v_fmac_f32_e32 v17, v16, v32
	v_sub_f32_e32 v32, v43, v17
	v_mov_b32_e32 v9, v46
	v_fmac_f32_e32 v9, 0xbf52af12, v32
	v_add_f32_e32 v8, v9, v8
	v_mul_f32_e32 v9, v3, v30
	v_fma_f32 v16, v2, v31, -v9
	v_mul_f32_e32 v9, v5, v44
	v_fma_f32 v33, v4, v45, -v9
	v_mul_f32_e32 v45, v5, v45
	v_mul_f32_e32 v31, v3, v31
	;; [unrolled: 1-line block ×3, first 2 shown]
	v_fmac_f32_e32 v45, v4, v44
	v_fma_f32 v44, v0, v37, -v3
	v_mul_f32_e32 v3, v7, v34
	v_add_f32_e32 v10, v16, v33
	v_fma_f32 v48, v6, v35, -v3
	v_mul_f32_e32 v35, v7, v35
	v_mul_f32_e32 v42, 0xbeb58ec6, v10
	v_fmac_f32_e32 v31, v2, v30
	v_add_f32_e32 v11, v44, v48
	v_fmac_f32_e32 v35, v6, v34
	v_mul_f32_e32 v34, v1, v37
	v_sub_f32_e32 v30, v45, v31
	v_mov_b32_e32 v2, v42
	v_mul_f32_e32 v49, 0x3df6dbef, v11
	v_fmac_f32_e32 v34, v0, v36
	v_fmac_f32_e32 v2, 0x3f6f5d39, v30
	v_sub_f32_e32 v36, v35, v34
	v_mov_b32_e32 v0, v49
	v_sub_f32_e32 v73, v25, v24
	v_add_f32_e32 v2, v2, v8
	v_fmac_f32_e32 v0, 0xbf7e222b, v36
	v_mul_f32_e32 v74, 0xbe750f2a, v73
	v_sub_f32_e32 v76, v65, v40
	v_add_f32_e32 v1, v0, v2
	v_add_f32_e32 v37, v23, v41
	v_mov_b32_e32 v0, v74
	v_mul_f32_e32 v77, 0x3eedf032, v76
	v_fmac_f32_e32 v0, 0xbf788fa5, v37
	v_add_f32_e32 v75, v14, v47
	v_mov_b32_e32 v2, v77
	v_sub_f32_e32 v79, v21, v20
	v_add_f32_e32 v0, v38, v0
	v_fmac_f32_e32 v2, 0x3f62ad3f, v75
	v_mul_f32_e32 v80, 0xbf29c268, v79
	v_add_f32_e32 v0, v2, v0
	v_add_f32_e32 v78, v19, v29
	v_mov_b32_e32 v2, v80
	v_sub_f32_e32 v82, v18, v15
	v_fmac_f32_e32 v2, 0xbf3f9e67, v78
	v_mul_f32_e32 v83, 0x3f52af12, v82
	v_add_f32_e32 v0, v2, v0
	v_add_f32_e32 v81, v17, v43
	v_mov_b32_e32 v2, v83
	v_sub_f32_e32 v85, v33, v16
	;; [unrolled: 6-line block ×3, first 2 shown]
	v_fmac_f32_e32 v2, 0xbeb58ec6, v84
	v_mul_f32_e32 v89, 0x3f7e222b, v88
	v_add_f32_e32 v0, v2, v0
	v_add_f32_e32 v87, v34, v35
	v_mov_b32_e32 v2, v89
	v_fmac_f32_e32 v2, 0x3df6dbef, v87
	v_mul_f32_e32 v90, 0xbf3f9e67, v70
	v_add_f32_e32 v0, v2, v0
	v_mov_b32_e32 v2, v90
	v_mul_f32_e32 v91, 0x3df6dbef, v66
	v_fmac_f32_e32 v2, 0x3f29c268, v12
	v_mov_b32_e32 v3, v91
	v_add_f32_e32 v2, v39, v2
	v_fmac_f32_e32 v3, 0xbf7e222b, v13
	v_mul_f32_e32 v92, 0x3f116cb1, v22
	v_add_f32_e32 v2, v3, v2
	v_mov_b32_e32 v3, v92
	v_fmac_f32_e32 v3, 0x3f52af12, v26
	v_mul_f32_e32 v93, 0xbf788fa5, v27
	v_add_f32_e32 v2, v3, v2
	v_mov_b32_e32 v3, v93
	v_fmac_f32_e32 v3, 0xbe750f2a, v32
	v_mul_f32_e32 v94, 0x3f62ad3f, v10
	v_add_f32_e32 v2, v3, v2
	v_mov_b32_e32 v3, v94
	v_fmac_f32_e32 v3, 0xbeedf032, v30
	v_mul_f32_e32 v95, 0xbeb58ec6, v11
	v_add_f32_e32 v2, v3, v2
	v_mov_b32_e32 v3, v95
	v_fmac_f32_e32 v3, 0x3f6f5d39, v36
	v_mul_f32_e32 v96, 0xbf29c268, v73
	v_add_f32_e32 v3, v3, v2
	v_mov_b32_e32 v2, v96
	v_mul_f32_e32 v97, 0x3f7e222b, v76
	v_fmac_f32_e32 v2, 0xbf3f9e67, v37
	v_mov_b32_e32 v4, v97
	v_add_f32_e32 v2, v38, v2
	v_fmac_f32_e32 v4, 0x3df6dbef, v75
	v_mul_f32_e32 v98, 0xbf52af12, v79
	v_add_f32_e32 v2, v4, v2
	v_mov_b32_e32 v4, v98
	v_fmac_f32_e32 v4, 0x3f116cb1, v78
	v_mul_f32_e32 v99, 0x3e750f2a, v82
	v_add_f32_e32 v2, v4, v2
	v_mov_b32_e32 v4, v99
	v_fmac_f32_e32 v4, 0xbf788fa5, v81
	v_mul_f32_e32 v100, 0x3eedf032, v85
	v_add_f32_e32 v2, v4, v2
	v_mov_b32_e32 v4, v100
	v_fmac_f32_e32 v4, 0x3f62ad3f, v84
	v_mul_f32_e32 v101, 0xbf6f5d39, v88
	;; [unrolled: 24-line block ×7, first 2 shown]
	v_add_f32_e32 v8, v9, v8
	v_mov_b32_e32 v9, v131
	v_fmac_f32_e32 v9, 0xbeedf032, v36
	v_mul_f32_e32 v132, 0xbf52af12, v73
	v_add_f32_e32 v9, v9, v8
	v_mov_b32_e32 v8, v132
	v_mul_f32_e32 v133, 0xbf6f5d39, v76
	v_fmac_f32_e32 v8, 0x3f116cb1, v37
	v_mov_b32_e32 v134, v133
	v_add_f32_e32 v8, v38, v8
	v_fmac_f32_e32 v134, 0xbeb58ec6, v75
	v_add_f32_e32 v8, v134, v8
	v_mul_f32_e32 v134, 0xbe750f2a, v79
	v_mov_b32_e32 v135, v134
	v_fmac_f32_e32 v135, 0xbf788fa5, v78
	v_add_f32_e32 v8, v135, v8
	v_mul_f32_e32 v135, 0x3f29c268, v82
	v_mov_b32_e32 v136, v135
	;; [unrolled: 4-line block ×4, first 2 shown]
	v_fmac_f32_e32 v138, 0x3f62ad3f, v87
	v_mul_f32_e32 v70, 0x3f62ad3f, v70
	v_add_f32_e32 v8, v138, v8
	v_mov_b32_e32 v138, v70
	v_mul_f32_e32 v66, 0x3f116cb1, v66
	v_fmac_f32_e32 v138, 0x3eedf032, v12
	v_mov_b32_e32 v139, v66
	v_add_f32_e32 v138, v39, v138
	v_fmac_f32_e32 v139, 0x3f52af12, v13
	v_add_f32_e32 v138, v139, v138
	v_mul_f32_e32 v139, 0x3df6dbef, v22
	v_mov_b32_e32 v22, v139
	v_fmac_f32_e32 v22, 0x3f7e222b, v26
	v_mul_f32_e32 v27, 0xbeb58ec6, v27
	v_add_f32_e32 v22, v22, v138
	v_mov_b32_e32 v138, v27
	v_fmac_f32_e32 v138, 0x3f6f5d39, v32
	v_add_f32_e32 v22, v138, v22
	v_mul_f32_e32 v138, 0xbf3f9e67, v10
	v_mov_b32_e32 v10, v138
	v_mul_f32_e32 v140, 0xbf788fa5, v11
	v_fmac_f32_e32 v10, 0x3f29c268, v30
	v_mov_b32_e32 v11, v140
	v_add_f32_e32 v10, v10, v22
	v_fmac_f32_e32 v11, 0x3e750f2a, v36
	v_mul_f32_e32 v73, 0xbeedf032, v73
	v_add_f32_e32 v11, v11, v10
	v_mov_b32_e32 v10, v73
	v_mul_f32_e32 v76, 0xbf52af12, v76
	v_fmac_f32_e32 v10, 0x3f62ad3f, v37
	v_mov_b32_e32 v22, v76
	v_add_f32_e32 v10, v38, v10
	v_fmac_f32_e32 v22, 0x3f116cb1, v75
	v_mul_f32_e32 v79, 0xbf7e222b, v79
	v_add_f32_e32 v10, v22, v10
	v_mov_b32_e32 v22, v79
	v_fmac_f32_e32 v22, 0x3df6dbef, v78
	v_mul_f32_e32 v82, 0xbf6f5d39, v82
	v_add_f32_e32 v10, v22, v10
	v_mov_b32_e32 v22, v82
	;; [unrolled: 4-line block ×4, first 2 shown]
	v_fmac_f32_e32 v22, 0xbf788fa5, v87
	v_add_f32_e32 v10, v22, v10
	v_add_f32_e32 v22, v25, v39
	;; [unrolled: 1-line block ×20, first 2 shown]
	v_fmac_f32_e32 v71, 0xbe750f2a, v12
	v_add_f32_e32 v14, v14, v16
	v_add_f32_e32 v16, v39, v71
	v_fmac_f32_e32 v72, 0x3eedf032, v13
	v_add_f32_e32 v16, v72, v16
	v_fmac_f32_e32 v28, 0xbf29c268, v26
	;; [unrolled: 2-line block ×4, first 2 shown]
	s_mov_b32 s2, 0xbf788fa5
	v_add_f32_e32 v16, v42, v16
	v_fmac_f32_e32 v49, 0x3f7e222b, v36
	s_mov_b32 s3, 0x3f62ad3f
	v_add_f32_e32 v17, v49, v16
	v_fma_f32 v16, v37, s2, -v74
	v_add_f32_e32 v16, v38, v16
	v_fma_f32 v18, v75, s3, -v77
	s_mov_b32 s5, 0x3f116cb1
	v_add_f32_e32 v16, v18, v16
	v_fma_f32 v18, v78, s4, -v80
	s_mov_b32 s12, 0xbeb58ec6
	;; [unrolled: 3-line block ×3, first 2 shown]
	v_add_f32_e32 v16, v18, v16
	v_fma_f32 v18, v84, s12, -v86
	v_add_f32_e32 v16, v18, v16
	v_fma_f32 v18, v87, s13, -v89
	v_fmac_f32_e32 v90, 0xbf29c268, v12
	v_add_f32_e32 v16, v18, v16
	v_add_f32_e32 v18, v39, v90
	v_fmac_f32_e32 v91, 0x3f7e222b, v13
	v_add_f32_e32 v18, v91, v18
	v_fmac_f32_e32 v92, 0xbf52af12, v26
	;; [unrolled: 2-line block ×5, first 2 shown]
	v_add_f32_e32 v19, v95, v18
	v_fma_f32 v18, v37, s4, -v96
	v_add_f32_e32 v15, v20, v15
	v_add_f32_e32 v18, v38, v18
	v_fma_f32 v20, v75, s13, -v97
	v_add_f32_e32 v18, v20, v18
	v_fma_f32 v20, v78, s5, -v98
	;; [unrolled: 2-line block ×5, first 2 shown]
	v_fmac_f32_e32 v102, 0xbf6f5d39, v12
	v_add_f32_e32 v18, v20, v18
	v_add_f32_e32 v20, v39, v102
	v_fmac_f32_e32 v103, 0x3f29c268, v13
	v_add_f32_e32 v20, v103, v20
	v_fmac_f32_e32 v104, 0x3eedf032, v26
	;; [unrolled: 2-line block ×5, first 2 shown]
	v_add_f32_e32 v21, v107, v20
	v_fma_f32 v20, v37, s12, -v108
	v_add_f32_e32 v20, v38, v20
	v_fma_f32 v22, v75, s4, -v109
	;; [unrolled: 2-line block ×6, first 2 shown]
	v_fmac_f32_e32 v114, 0xbf7e222b, v12
	v_add_f32_e32 v20, v22, v20
	v_add_f32_e32 v22, v39, v114
	v_fmac_f32_e32 v115, 0xbe750f2a, v13
	v_add_f32_e32 v22, v115, v22
	v_fmac_f32_e32 v116, 0x3f6f5d39, v26
	;; [unrolled: 2-line block ×5, first 2 shown]
	v_add_f32_e32 v15, v40, v15
	v_add_f32_e32 v14, v23, v14
	;; [unrolled: 1-line block ×3, first 2 shown]
	v_fma_f32 v22, v37, s13, -v120
	v_add_f32_e32 v15, v24, v15
	v_add_f32_e32 v22, v38, v22
	v_fma_f32 v24, v75, s2, -v121
	v_add_f32_e32 v22, v24, v22
	v_fma_f32 v24, v78, s12, -v122
	;; [unrolled: 2-line block ×5, first 2 shown]
	v_fmac_f32_e32 v126, 0xbf52af12, v12
	v_fmac_f32_e32 v70, 0xbeedf032, v12
	v_add_f32_e32 v22, v24, v22
	v_add_f32_e32 v24, v39, v126
	v_fmac_f32_e32 v127, 0xbf6f5d39, v13
	v_add_f32_e32 v12, v39, v70
	v_fmac_f32_e32 v66, 0xbf52af12, v13
	;; [unrolled: 2-line block ×10, first 2 shown]
	v_add_f32_e32 v25, v131, v24
	v_fma_f32 v24, v37, s5, -v132
	v_add_f32_e32 v13, v140, v12
	v_fma_f32 v12, v37, s3, -v73
	;; [unrolled: 2-line block ×12, first 2 shown]
	ds_write_b64 v67, v[14:15]
	v_lshl_add_u32 v14, v68, 3, v69
	v_add_f32_e32 v24, v28, v24
	v_add_f32_e32 v12, v26, v12
	ds_write2_b64 v14, v[10:11], v[8:9] offset0:7 offset1:14
	ds_write2_b64 v14, v[6:7], v[4:5] offset0:21 offset1:28
	;; [unrolled: 1-line block ×6, first 2 shown]
.LBB0_9:
	s_or_b64 exec, exec, s[0:1]
	s_waitcnt lgkmcnt(0)
	s_barrier
	ds_read2_b64 v[0:3], v67 offset1:13
	v_mad_u64_u32 v[4:5], s[0:1], s10, v52, 0
	s_mov_b32 s0, 0x16816817
	s_mov_b32 s1, 0x3f868168
	s_waitcnt lgkmcnt(0)
	v_mul_f32_e32 v6, v62, v1
	v_fmac_f32_e32 v6, v61, v0
	v_cvt_f64_f32_e32 v[6:7], v6
	v_mul_f32_e32 v0, v62, v0
	v_fma_f32 v0, v61, v1, -v0
	v_cvt_f64_f32_e32 v[0:1], v0
	v_mul_f64 v[6:7], v[6:7], s[0:1]
	v_mad_u64_u32 v[8:9], s[2:3], s8, v68, 0
	v_mul_f64 v[0:1], v[0:1], s[0:1]
	v_mad_u64_u32 v[10:11], s[2:3], s11, v52, v[5:6]
	v_mov_b32_e32 v5, v9
	v_mad_u64_u32 v[11:12], s[2:3], s9, v68, v[5:6]
	v_mov_b32_e32 v5, v10
	v_cvt_f32_f64_e32 v6, v[6:7]
	v_cvt_f32_f64_e32 v7, v[0:1]
	v_lshlrev_b64 v[0:1], 3, v[4:5]
	v_mul_f32_e32 v4, v64, v3
	v_fmac_f32_e32 v4, v63, v2
	v_mul_f32_e32 v2, v64, v2
	v_fma_f32 v2, v63, v3, -v2
	v_mov_b32_e32 v9, v11
	v_mov_b32_e32 v10, s7
	v_cvt_f64_f32_e32 v[2:3], v2
	v_add_co_u32_e32 v11, vcc, s6, v0
	v_addc_co_u32_e32 v12, vcc, v10, v1, vcc
	v_lshlrev_b64 v[0:1], 3, v[8:9]
	v_mul_f64 v[8:9], v[2:3], s[0:1]
	v_add_co_u32_e32 v10, vcc, v11, v0
	v_addc_co_u32_e32 v11, vcc, v12, v1, vcc
	ds_read2_b64 v[0:3], v67 offset0:26 offset1:39
	v_cvt_f64_f32_e32 v[4:5], v4
	global_store_dwordx2 v[10:11], v[6:7], off
	s_mul_i32 s2, s9, 0x68
	s_mul_hi_u32 s3, s8, 0x68
	s_waitcnt lgkmcnt(0)
	v_mul_f32_e32 v6, v60, v1
	v_fmac_f32_e32 v6, v59, v0
	v_mul_f32_e32 v0, v60, v0
	v_fma_f32 v0, v59, v1, -v0
	v_mul_f64 v[4:5], v[4:5], s[0:1]
	v_cvt_f64_f32_e32 v[0:1], v0
	v_cvt_f64_f32_e32 v[6:7], v6
	s_add_i32 s2, s3, s2
	s_mul_i32 s3, s8, 0x68
	v_mul_f64 v[0:1], v[0:1], s[0:1]
	v_mul_f64 v[6:7], v[6:7], s[0:1]
	v_mov_b32_e32 v12, s2
	v_cvt_f32_f64_e32 v4, v[4:5]
	v_cvt_f32_f64_e32 v5, v[8:9]
	v_mov_b32_e32 v9, s2
	v_add_co_u32_e32 v8, vcc, s3, v10
	v_addc_co_u32_e32 v9, vcc, v11, v9, vcc
	global_store_dwordx2 v[8:9], v[4:5], off
	v_cvt_f32_f64_e32 v5, v[0:1]
	v_mul_f32_e32 v0, v58, v3
	v_fmac_f32_e32 v0, v57, v2
	v_cvt_f32_f64_e32 v4, v[6:7]
	v_cvt_f64_f32_e32 v[6:7], v0
	v_mul_f32_e32 v0, v58, v2
	v_fma_f32 v0, v57, v3, -v0
	v_cvt_f64_f32_e32 v[10:11], v0
	ds_read2_b64 v[0:3], v67 offset0:52 offset1:65
	v_add_co_u32_e32 v8, vcc, s3, v8
	v_addc_co_u32_e32 v9, vcc, v9, v12, vcc
	global_store_dwordx2 v[8:9], v[4:5], off
	v_mul_f64 v[4:5], v[6:7], s[0:1]
	v_mul_f64 v[6:7], v[10:11], s[0:1]
	s_waitcnt lgkmcnt(0)
	v_mul_f32_e32 v10, v56, v1
	v_fmac_f32_e32 v10, v55, v0
	v_mul_f32_e32 v0, v56, v0
	v_fma_f32 v0, v55, v1, -v0
	v_cvt_f64_f32_e32 v[0:1], v0
	v_cvt_f64_f32_e32 v[10:11], v10
	v_cvt_f32_f64_e32 v4, v[4:5]
	v_cvt_f32_f64_e32 v5, v[6:7]
	v_mul_f64 v[0:1], v[0:1], s[0:1]
	v_mul_f64 v[6:7], v[10:11], s[0:1]
	v_mov_b32_e32 v10, s2
	v_add_co_u32_e32 v8, vcc, s3, v8
	v_addc_co_u32_e32 v9, vcc, v9, v10, vcc
	global_store_dwordx2 v[8:9], v[4:5], off
	v_cvt_f32_f64_e32 v5, v[0:1]
	v_mul_f32_e32 v0, v54, v3
	v_fmac_f32_e32 v0, v53, v2
	v_mul_f32_e32 v2, v54, v2
	v_fma_f32 v2, v53, v3, -v2
	v_cvt_f32_f64_e32 v4, v[6:7]
	v_cvt_f64_f32_e32 v[0:1], v0
	v_cvt_f64_f32_e32 v[2:3], v2
	ds_read_b64 v[6:7], v67 offset:624
	v_add_co_u32_e32 v8, vcc, s3, v8
	v_addc_co_u32_e32 v9, vcc, v9, v10, vcc
	v_mul_f64 v[0:1], v[0:1], s[0:1]
	v_mul_f64 v[2:3], v[2:3], s[0:1]
	global_store_dwordx2 v[8:9], v[4:5], off
	s_waitcnt lgkmcnt(0)
	v_mul_f32_e32 v4, v51, v7
	v_fmac_f32_e32 v4, v50, v6
	v_mul_f32_e32 v6, v51, v6
	v_fma_f32 v6, v50, v7, -v6
	v_cvt_f64_f32_e32 v[4:5], v4
	v_cvt_f64_f32_e32 v[6:7], v6
	v_cvt_f32_f64_e32 v0, v[0:1]
	v_cvt_f32_f64_e32 v1, v[2:3]
	v_mul_f64 v[2:3], v[4:5], s[0:1]
	v_mul_f64 v[4:5], v[6:7], s[0:1]
	v_mov_b32_e32 v7, s2
	v_add_co_u32_e32 v6, vcc, s3, v8
	v_addc_co_u32_e32 v7, vcc, v9, v7, vcc
	global_store_dwordx2 v[6:7], v[0:1], off
	v_cvt_f32_f64_e32 v0, v[2:3]
	v_cvt_f32_f64_e32 v1, v[4:5]
	v_mov_b32_e32 v3, s2
	v_add_co_u32_e32 v2, vcc, s3, v6
	v_addc_co_u32_e32 v3, vcc, v7, v3, vcc
	global_store_dwordx2 v[2:3], v[0:1], off
.LBB0_10:
	s_endpgm
	.section	.rodata,"a",@progbits
	.p2align	6, 0x0
	.amdhsa_kernel bluestein_single_back_len91_dim1_sp_op_CI_CI
		.amdhsa_group_segment_fixed_size 13832
		.amdhsa_private_segment_fixed_size 0
		.amdhsa_kernarg_size 104
		.amdhsa_user_sgpr_count 6
		.amdhsa_user_sgpr_private_segment_buffer 1
		.amdhsa_user_sgpr_dispatch_ptr 0
		.amdhsa_user_sgpr_queue_ptr 0
		.amdhsa_user_sgpr_kernarg_segment_ptr 1
		.amdhsa_user_sgpr_dispatch_id 0
		.amdhsa_user_sgpr_flat_scratch_init 0
		.amdhsa_user_sgpr_private_segment_size 0
		.amdhsa_uses_dynamic_stack 0
		.amdhsa_system_sgpr_private_segment_wavefront_offset 0
		.amdhsa_system_sgpr_workgroup_id_x 1
		.amdhsa_system_sgpr_workgroup_id_y 0
		.amdhsa_system_sgpr_workgroup_id_z 0
		.amdhsa_system_sgpr_workgroup_info 0
		.amdhsa_system_vgpr_workitem_id 0
		.amdhsa_next_free_vgpr 228
		.amdhsa_next_free_sgpr 20
		.amdhsa_reserve_vcc 1
		.amdhsa_reserve_flat_scratch 0
		.amdhsa_float_round_mode_32 0
		.amdhsa_float_round_mode_16_64 0
		.amdhsa_float_denorm_mode_32 3
		.amdhsa_float_denorm_mode_16_64 3
		.amdhsa_dx10_clamp 1
		.amdhsa_ieee_mode 1
		.amdhsa_fp16_overflow 0
		.amdhsa_exception_fp_ieee_invalid_op 0
		.amdhsa_exception_fp_denorm_src 0
		.amdhsa_exception_fp_ieee_div_zero 0
		.amdhsa_exception_fp_ieee_overflow 0
		.amdhsa_exception_fp_ieee_underflow 0
		.amdhsa_exception_fp_ieee_inexact 0
		.amdhsa_exception_int_div_zero 0
	.end_amdhsa_kernel
	.text
.Lfunc_end0:
	.size	bluestein_single_back_len91_dim1_sp_op_CI_CI, .Lfunc_end0-bluestein_single_back_len91_dim1_sp_op_CI_CI
                                        ; -- End function
	.section	.AMDGPU.csdata,"",@progbits
; Kernel info:
; codeLenInByte = 9464
; NumSgprs: 24
; NumVgprs: 228
; ScratchSize: 0
; MemoryBound: 0
; FloatMode: 240
; IeeeMode: 1
; LDSByteSize: 13832 bytes/workgroup (compile time only)
; SGPRBlocks: 2
; VGPRBlocks: 56
; NumSGPRsForWavesPerEU: 24
; NumVGPRsForWavesPerEU: 228
; Occupancy: 1
; WaveLimiterHint : 1
; COMPUTE_PGM_RSRC2:SCRATCH_EN: 0
; COMPUTE_PGM_RSRC2:USER_SGPR: 6
; COMPUTE_PGM_RSRC2:TRAP_HANDLER: 0
; COMPUTE_PGM_RSRC2:TGID_X_EN: 1
; COMPUTE_PGM_RSRC2:TGID_Y_EN: 0
; COMPUTE_PGM_RSRC2:TGID_Z_EN: 0
; COMPUTE_PGM_RSRC2:TIDIG_COMP_CNT: 0
	.type	__hip_cuid_5cfb03c5c3692630,@object ; @__hip_cuid_5cfb03c5c3692630
	.section	.bss,"aw",@nobits
	.globl	__hip_cuid_5cfb03c5c3692630
__hip_cuid_5cfb03c5c3692630:
	.byte	0                               ; 0x0
	.size	__hip_cuid_5cfb03c5c3692630, 1

	.ident	"AMD clang version 19.0.0git (https://github.com/RadeonOpenCompute/llvm-project roc-6.4.0 25133 c7fe45cf4b819c5991fe208aaa96edf142730f1d)"
	.section	".note.GNU-stack","",@progbits
	.addrsig
	.addrsig_sym __hip_cuid_5cfb03c5c3692630
	.amdgpu_metadata
---
amdhsa.kernels:
  - .args:
      - .actual_access:  read_only
        .address_space:  global
        .offset:         0
        .size:           8
        .value_kind:     global_buffer
      - .actual_access:  read_only
        .address_space:  global
        .offset:         8
        .size:           8
        .value_kind:     global_buffer
      - .actual_access:  read_only
        .address_space:  global
        .offset:         16
        .size:           8
        .value_kind:     global_buffer
      - .actual_access:  read_only
        .address_space:  global
        .offset:         24
        .size:           8
        .value_kind:     global_buffer
      - .actual_access:  read_only
        .address_space:  global
        .offset:         32
        .size:           8
        .value_kind:     global_buffer
      - .offset:         40
        .size:           8
        .value_kind:     by_value
      - .address_space:  global
        .offset:         48
        .size:           8
        .value_kind:     global_buffer
      - .address_space:  global
        .offset:         56
        .size:           8
        .value_kind:     global_buffer
      - .address_space:  global
        .offset:         64
        .size:           8
        .value_kind:     global_buffer
      - .address_space:  global
        .offset:         72
        .size:           8
        .value_kind:     global_buffer
      - .offset:         80
        .size:           4
        .value_kind:     by_value
      - .address_space:  global
        .offset:         88
        .size:           8
        .value_kind:     global_buffer
      - .address_space:  global
        .offset:         96
        .size:           8
        .value_kind:     global_buffer
    .group_segment_fixed_size: 13832
    .kernarg_segment_align: 8
    .kernarg_segment_size: 104
    .language:       OpenCL C
    .language_version:
      - 2
      - 0
    .max_flat_workgroup_size: 247
    .name:           bluestein_single_back_len91_dim1_sp_op_CI_CI
    .private_segment_fixed_size: 0
    .sgpr_count:     24
    .sgpr_spill_count: 0
    .symbol:         bluestein_single_back_len91_dim1_sp_op_CI_CI.kd
    .uniform_work_group_size: 1
    .uses_dynamic_stack: false
    .vgpr_count:     228
    .vgpr_spill_count: 0
    .wavefront_size: 64
amdhsa.target:   amdgcn-amd-amdhsa--gfx906
amdhsa.version:
  - 1
  - 2
...

	.end_amdgpu_metadata
